;; amdgpu-corpus repo=ROCm/rocFFT kind=compiled arch=gfx906 opt=O3
	.text
	.amdgcn_target "amdgcn-amd-amdhsa--gfx906"
	.amdhsa_code_object_version 6
	.protected	fft_rtc_fwd_len128_factors_8_4_2_2_wgs_128_tpt_8_dim3_sp_ip_CI_sbcc_twdbase8_2step_dirReg_intrinsicReadWrite ; -- Begin function fft_rtc_fwd_len128_factors_8_4_2_2_wgs_128_tpt_8_dim3_sp_ip_CI_sbcc_twdbase8_2step_dirReg_intrinsicReadWrite
	.globl	fft_rtc_fwd_len128_factors_8_4_2_2_wgs_128_tpt_8_dim3_sp_ip_CI_sbcc_twdbase8_2step_dirReg_intrinsicReadWrite
	.p2align	8
	.type	fft_rtc_fwd_len128_factors_8_4_2_2_wgs_128_tpt_8_dim3_sp_ip_CI_sbcc_twdbase8_2step_dirReg_intrinsicReadWrite,@function
fft_rtc_fwd_len128_factors_8_4_2_2_wgs_128_tpt_8_dim3_sp_ip_CI_sbcc_twdbase8_2step_dirReg_intrinsicReadWrite: ; @fft_rtc_fwd_len128_factors_8_4_2_2_wgs_128_tpt_8_dim3_sp_ip_CI_sbcc_twdbase8_2step_dirReg_intrinsicReadWrite
; %bb.0:
	s_load_dwordx4 s[0:3], s[4:5], 0x10
	s_mov_b32 s7, 0
	s_mov_b64 s[20:21], 0
	s_waitcnt lgkmcnt(0)
	s_load_dwordx2 s[10:11], s[0:1], 0x8
	s_waitcnt lgkmcnt(0)
	s_add_u32 s8, s10, -1
	s_addc_u32 s9, s11, -1
	s_lshr_b64 s[8:9], s[8:9], 4
	s_add_u32 s18, s8, 1
	s_addc_u32 s19, s9, 0
	v_mov_b32_e32 v1, s18
	v_mov_b32_e32 v2, s19
	v_cmp_lt_u64_e32 vcc, s[6:7], v[1:2]
	s_cbranch_vccnz .LBB0_2
; %bb.1:
	v_cvt_f32_u32_e32 v1, s18
	s_sub_i32 s8, 0, s18
	s_mov_b32 s21, s7
	v_rcp_iflag_f32_e32 v1, v1
	v_mul_f32_e32 v1, 0x4f7ffffe, v1
	v_cvt_u32_f32_e32 v1, v1
	v_readfirstlane_b32 s9, v1
	s_mul_i32 s8, s8, s9
	s_mul_hi_u32 s8, s9, s8
	s_add_i32 s9, s9, s8
	s_mul_hi_u32 s8, s6, s9
	s_mul_i32 s12, s8, s18
	s_sub_i32 s12, s6, s12
	s_add_i32 s9, s8, 1
	s_sub_i32 s13, s12, s18
	s_cmp_ge_u32 s12, s18
	s_cselect_b32 s8, s9, s8
	s_cselect_b32 s12, s13, s12
	s_add_i32 s9, s8, 1
	s_cmp_ge_u32 s12, s18
	s_cselect_b32 s20, s9, s8
.LBB0_2:
	s_load_dwordx2 s[22:23], s[0:1], 0x10
	s_load_dwordx2 s[8:9], s[4:5], 0x50
	s_load_dwordx2 s[16:17], s[4:5], 0x0
	s_load_dwordx4 s[12:15], s[2:3], 0x0
	s_mov_b64 s[0:1], s[20:21]
	s_waitcnt lgkmcnt(0)
	v_mov_b32_e32 v1, s22
	v_mov_b32_e32 v2, s23
	v_cmp_lt_u64_e32 vcc, s[20:21], v[1:2]
	s_cbranch_vccnz .LBB0_4
; %bb.3:
	v_cvt_f32_u32_e32 v1, s22
	s_sub_i32 s0, 0, s22
	v_rcp_iflag_f32_e32 v1, v1
	v_mul_f32_e32 v1, 0x4f7ffffe, v1
	v_cvt_u32_f32_e32 v1, v1
	v_readfirstlane_b32 s1, v1
	s_mul_i32 s0, s0, s1
	s_mul_hi_u32 s0, s1, s0
	s_add_i32 s1, s1, s0
	s_mul_hi_u32 s0, s20, s1
	s_mul_i32 s0, s0, s22
	s_sub_i32 s0, s20, s0
	s_sub_i32 s1, s0, s22
	s_cmp_ge_u32 s0, s22
	s_cselect_b32 s0, s1, s0
	s_sub_i32 s1, s0, s22
	s_cmp_ge_u32 s0, s22
	s_cselect_b32 s0, s1, s0
.LBB0_4:
	s_mul_i32 s1, s22, s19
	s_mul_hi_u32 s13, s22, s18
	s_add_i32 s1, s13, s1
	s_mul_i32 s13, s23, s18
	s_mul_i32 s24, s22, s18
	s_add_i32 s25, s1, s13
	s_load_dwordx2 s[22:23], s[2:3], 0x10
	v_mov_b32_e32 v1, s24
	v_mov_b32_e32 v2, s25
	v_cmp_lt_u64_e32 vcc, s[6:7], v[1:2]
	s_mov_b64 s[26:27], 0
	s_cbranch_vccnz .LBB0_6
; %bb.5:
	v_cvt_f32_u32_e32 v1, s24
	s_sub_i32 s1, 0, s24
	v_rcp_iflag_f32_e32 v1, v1
	v_mul_f32_e32 v1, 0x4f7ffffe, v1
	v_cvt_u32_f32_e32 v1, v1
	v_readfirstlane_b32 s7, v1
	s_mul_i32 s1, s1, s7
	s_mul_hi_u32 s1, s7, s1
	s_add_i32 s7, s7, s1
	s_mul_hi_u32 s1, s6, s7
	s_mul_i32 s13, s1, s24
	s_sub_i32 s13, s6, s13
	s_add_i32 s7, s1, 1
	s_sub_i32 s15, s13, s24
	s_cmp_ge_u32 s13, s24
	s_cselect_b32 s1, s7, s1
	s_cselect_b32 s13, s15, s13
	s_add_i32 s7, s1, 1
	s_cmp_ge_u32 s13, s24
	s_cselect_b32 s26, s7, s1
.LBB0_6:
	s_mul_i32 s1, s20, s19
	s_mul_hi_u32 s7, s20, s18
	s_add_i32 s7, s7, s1
	s_mul_i32 s1, s20, s18
	s_sub_u32 s6, s6, s1
	s_load_dword s1, s[2:3], 0x18
	s_subb_u32 s7, 0, s7
	s_lshl_b64 s[2:3], s[6:7], 4
	s_mul_i32 s6, s14, s2
	s_waitcnt lgkmcnt(0)
	s_mul_i32 s0, s22, s0
	s_add_i32 s0, s0, s6
	s_mul_i32 s1, s1, s26
	s_add_i32 s6, s1, s0
	v_and_b32_e32 v65, 15, v0
	v_lshrrev_b32_e32 v30, 4, v0
	s_add_u32 s0, s2, 16
	v_mul_lo_u32 v22, s14, v65
	v_mul_lo_u32 v0, s12, v30
	v_mov_b32_e32 v3, s10
	v_or_b32_e32 v1, s2, v65
	v_mov_b32_e32 v2, s3
	s_addc_u32 s1, s3, 0
	v_mov_b32_e32 v4, s11
	v_cmp_le_u64_e32 vcc, s[0:1], v[3:4]
	v_cmp_gt_u64_e64 s[0:1], s[10:11], v[1:2]
	v_add_lshl_u32 v0, v22, v0, 3
	s_or_b64 vcc, vcc, s[0:1]
	v_or_b32_e32 v29, 16, v30
	v_cndmask_b32_e32 v18, -1, v0, vcc
	v_mul_lo_u32 v0, s12, v29
	v_or_b32_e32 v26, 32, v30
	v_mul_lo_u32 v2, s12, v26
	v_or_b32_e32 v21, 48, v30
	v_add_lshl_u32 v0, v22, v0, 3
	v_or_b32_e32 v34, 64, v30
	v_or_b32_e32 v32, 0x50, v30
	v_cndmask_b32_e32 v17, -1, v0, vcc
	v_add_lshl_u32 v0, v22, v2, 3
	v_mul_lo_u32 v2, s12, v21
	v_mul_lo_u32 v3, s12, v34
	;; [unrolled: 1-line block ×3, first 2 shown]
	v_or_b32_e32 v31, 0x60, v30
	v_or_b32_e32 v28, 0x70, v30
	v_mul_lo_u32 v5, s12, v31
	v_mul_lo_u32 v6, s12, v28
	v_cndmask_b32_e32 v14, -1, v0, vcc
	v_add_lshl_u32 v0, v22, v2, 3
	v_add_lshl_u32 v2, v22, v3, 3
	;; [unrolled: 1-line block ×3, first 2 shown]
	s_lshl_b32 s2, s6, 3
	s_mov_b32 s11, 0x20000
	s_mov_b32 s10, -2
	v_cndmask_b32_e32 v0, -1, v0, vcc
	v_cndmask_b32_e32 v20, -1, v2, vcc
	;; [unrolled: 1-line block ×3, first 2 shown]
	v_add_lshl_u32 v4, v22, v5, 3
	v_add_lshl_u32 v6, v22, v6, 3
	buffer_load_dwordx2 v[2:3], v20, s[8:11], s2 offen
	v_cndmask_b32_e32 v16, -1, v4, vcc
	buffer_load_dwordx2 v[4:5], v18, s[8:11], s2 offen
	v_cndmask_b32_e32 v15, -1, v6, vcc
	buffer_load_dwordx2 v[6:7], v0, s[8:11], s2 offen
	buffer_load_dwordx2 v[8:9], v14, s[8:11], s2 offen
	;; [unrolled: 1-line block ×6, first 2 shown]
	v_or_b32_e32 v37, 56, v30
	v_mul_lo_u32 v27, s12, v37
	v_or_b32_e32 v43, 8, v30
	v_or_b32_e32 v41, 24, v30
	;; [unrolled: 1-line block ×5, first 2 shown]
	v_mul_lo_u32 v23, s12, v43
	v_mul_lo_u32 v24, s12, v41
	v_or_b32_e32 v39, 40, v30
	v_or_b32_e32 v44, 0x48, v30
	v_mul_lo_u32 v33, s12, v42
	v_mul_lo_u32 v35, s12, v40
	v_mul_lo_u32 v36, s12, v38
	v_mul_lo_u32 v25, s12, v39
	v_add_lshl_u32 v55, v22, v27, 3
	v_mul_lo_u32 v27, s12, v44
	v_add_lshl_u32 v23, v22, v23, 3
	v_add_lshl_u32 v24, v22, v24, 3
	;; [unrolled: 1-line block ×7, first 2 shown]
	v_cndmask_b32_e32 v36, -1, v23, vcc
	v_cndmask_b32_e32 v23, -1, v33, vcc
	;; [unrolled: 1-line block ×6, first 2 shown]
	buffer_load_dwordx2 v[49:50], v36, s[8:11], s2 offen
	buffer_load_dwordx2 v[51:52], v35, s[8:11], s2 offen
	v_cndmask_b32_e32 v25, -1, v25, vcc
	buffer_load_dwordx2 v[53:54], v23, s[8:11], s2 offen
	v_cndmask_b32_e32 v27, -1, v56, vcc
	buffer_load_dwordx2 v[55:56], v22, s[8:11], s2 offen
	buffer_load_dwordx2 v[57:58], v25, s[8:11], s2 offen
	buffer_load_dwordx2 v[59:60], v33, s[8:11], s2 offen
	buffer_load_dwordx2 v[61:62], v24, s[8:11], s2 offen
	buffer_load_dwordx2 v[63:64], v27, s[8:11], s2 offen
	s_movk_i32 s0, 0xfc80
	v_mov_b32_e32 v106, 3
	v_mul_lo_u32 v32, v1, v32
	v_mul_lo_u32 v85, v1, v31
	;; [unrolled: 1-line block ×5, first 2 shown]
	v_lshlrev_b32_sdwa v88, v106, v85 dst_sel:DWORD dst_unused:UNUSED_PAD src0_sel:DWORD src1_sel:BYTE_0
	v_lshlrev_b32_sdwa v89, v106, v85 dst_sel:DWORD dst_unused:UNUSED_PAD src0_sel:DWORD src1_sel:BYTE_1
	v_lshlrev_b32_sdwa v96, v106, v91 dst_sel:DWORD dst_unused:UNUSED_PAD src0_sel:DWORD src1_sel:BYTE_0
	v_lshlrev_b32_sdwa v97, v106, v91 dst_sel:DWORD dst_unused:UNUSED_PAD src0_sel:DWORD src1_sel:BYTE_1
	s_waitcnt vmcnt(14)
	v_sub_f32_e32 v2, v4, v2
	v_sub_f32_e32 v66, v5, v3
	s_waitcnt vmcnt(10)
	v_sub_f32_e32 v12, v8, v12
	v_sub_f32_e32 v13, v9, v13
	;; [unrolled: 3-line block ×3, first 2 shown]
	v_sub_f32_e32 v45, v6, v45
	v_sub_f32_e32 v46, v7, v46
	v_fma_f32 v3, v4, 2.0, -v2
	v_fma_f32 v4, v5, 2.0, -v66
	;; [unrolled: 1-line block ×8, first 2 shown]
	v_sub_f32_e32 v13, v2, v13
	v_sub_f32_e32 v11, v3, v5
	;; [unrolled: 1-line block ×5, first 2 shown]
	v_add_f32_e32 v70, v66, v12
	v_sub_f32_e32 v46, v47, v46
	v_fma_f32 v2, v2, 2.0, -v13
	v_fma_f32 v5, v3, 2.0, -v11
	;; [unrolled: 1-line block ×5, first 2 shown]
	v_add_f32_e32 v45, v48, v45
	v_fma_f32 v10, v66, 2.0, -v70
	v_fma_f32 v9, v47, 2.0, -v46
	v_mov_b32_e32 v7, v2
	v_fma_f32 v12, v48, 2.0, -v45
	v_fmac_f32_e32 v7, 0xbf3504f3, v9
	v_mov_b32_e32 v8, v10
	v_fmac_f32_e32 v8, 0xbf3504f3, v12
	v_fmac_f32_e32 v7, 0xbf3504f3, v12
	v_sub_f32_e32 v3, v5, v3
	v_sub_f32_e32 v4, v6, v4
	v_fmac_f32_e32 v8, 0x3f3504f3, v9
	v_fma_f32 v9, v2, 2.0, -v7
	v_lshlrev_b32_e32 v2, 3, v65
	v_lshlrev_b32_e32 v12, 10, v30
	v_fma_f32 v5, v5, 2.0, -v3
	v_fma_f32 v6, v6, 2.0, -v4
	;; [unrolled: 1-line block ×3, first 2 shown]
	v_add3_u32 v47, 0, v12, v2
	ds_write2_b64 v47, v[5:6], v[9:10] offset1:16
	v_sub_f32_e32 v5, v11, v69
	v_fma_f32 v9, v11, 2.0, -v5
	v_mov_b32_e32 v11, v13
	v_mov_b32_e32 v12, v70
	v_fmac_f32_e32 v11, 0x3f3504f3, v46
	v_fmac_f32_e32 v12, 0x3f3504f3, v45
	v_add_f32_e32 v6, v67, v68
	v_fmac_f32_e32 v11, 0xbf3504f3, v45
	v_fmac_f32_e32 v12, 0x3f3504f3, v46
	v_fma_f32 v10, v67, 2.0, -v6
	v_fma_f32 v45, v13, 2.0, -v11
	;; [unrolled: 1-line block ×3, first 2 shown]
	ds_write2_b64 v47, v[9:10], v[45:46] offset0:32 offset1:48
	ds_write2_b64 v47, v[3:4], v[7:8] offset0:64 offset1:80
	;; [unrolled: 1-line block ×3, first 2 shown]
	s_waitcnt vmcnt(6)
	v_sub_f32_e32 v7, v49, v51
	s_waitcnt vmcnt(3)
	v_sub_f32_e32 v9, v57, v53
	s_waitcnt vmcnt(0)
	v_sub_f32_e32 v11, v59, v63
	v_sub_f32_e32 v46, v55, v61
	v_sub_f32_e32 v8, v50, v52
	v_fma_f32 v3, v49, 2.0, -v7
	v_sub_f32_e32 v10, v58, v54
	v_fma_f32 v5, v57, 2.0, -v9
	;; [unrolled: 2-line block ×4, first 2 shown]
	v_fma_f32 v4, v50, 2.0, -v8
	v_fma_f32 v6, v58, 2.0, -v10
	v_fma_f32 v45, v60, 2.0, -v12
	v_fma_f32 v50, v56, 2.0, -v48
	v_sub_f32_e32 v51, v3, v5
	v_sub_f32_e32 v49, v13, v49
	v_add_f32_e32 v53, v8, v9
	v_sub_f32_e32 v52, v4, v6
	v_fma_f32 v5, v3, 2.0, -v51
	v_sub_f32_e32 v50, v45, v50
	v_fma_f32 v3, v13, 2.0, -v49
	;; [unrolled: 2-line block ×3, first 2 shown]
	v_add_f32_e32 v46, v12, v46
	v_fma_f32 v6, v4, 2.0, -v52
	v_fma_f32 v4, v45, 2.0, -v50
	;; [unrolled: 1-line block ×3, first 2 shown]
	v_sub_f32_e32 v45, v11, v48
	v_fma_f32 v12, v12, 2.0, -v46
	v_mov_b32_e32 v8, v10
	v_fma_f32 v11, v11, 2.0, -v45
	v_mov_b32_e32 v7, v9
	v_fmac_f32_e32 v8, 0xbf3504f3, v12
	v_fmac_f32_e32 v7, 0xbf3504f3, v11
	;; [unrolled: 1-line block ×3, first 2 shown]
	v_lshlrev_b32_e32 v11, 10, v43
	v_sub_f32_e32 v3, v5, v3
	v_sub_f32_e32 v4, v6, v4
	v_fmac_f32_e32 v7, 0xbf3504f3, v12
	v_add3_u32 v54, 0, v11, v2
	v_mov_b32_e32 v11, v13
	v_mov_b32_e32 v12, v53
	v_fma_f32 v5, v5, 2.0, -v3
	v_fma_f32 v6, v6, 2.0, -v4
	;; [unrolled: 1-line block ×4, first 2 shown]
	v_fmac_f32_e32 v11, 0x3f3504f3, v45
	v_fmac_f32_e32 v12, 0x3f3504f3, v46
	ds_write2_b64 v54, v[5:6], v[9:10] offset1:16
	v_sub_f32_e32 v5, v51, v50
	v_add_f32_e32 v6, v52, v49
	v_fmac_f32_e32 v11, 0xbf3504f3, v46
	v_fmac_f32_e32 v12, 0x3f3504f3, v45
	v_fma_f32 v9, v51, 2.0, -v5
	v_fma_f32 v10, v52, 2.0, -v6
	;; [unrolled: 1-line block ×4, first 2 shown]
	ds_write2_b64 v54, v[9:10], v[45:46] offset0:32 offset1:48
	ds_write2_b64 v54, v[3:4], v[7:8] offset0:64 offset1:80
	ds_write2_b64 v54, v[5:6], v[11:12] offset0:96 offset1:112
	v_mul_u32_u24_e32 v3, 3, v30
	v_lshlrev_b32_e32 v7, 3, v3
	s_waitcnt lgkmcnt(0)
	s_barrier
	global_load_dwordx4 v[3:6], v7, s[16:17]
	global_load_dwordx2 v[11:12], v7, s[16:17] offset:16
	v_mad_i32_i24 v45, v30, s0, v47
	ds_read2st64_b64 v[7:10], v45 offset0:16 offset1:18
	ds_read2st64_b64 v[46:49], v45 offset0:12 offset1:14
	s_waitcnt vmcnt(1) lgkmcnt(1)
	v_mul_f32_e32 v13, v6, v8
	v_fma_f32 v13, v5, v7, -v13
	v_mul_f32_e32 v56, v6, v7
	v_mul_f32_e32 v7, v10, v6
	v_fma_f32 v57, v9, v5, -v7
	v_mul_f32_e32 v58, v9, v6
	s_waitcnt lgkmcnt(0)
	v_mul_f32_e32 v7, v47, v4
	v_fmac_f32_e32 v56, v5, v8
	v_fmac_f32_e32 v58, v10, v5
	v_fma_f32 v59, v46, v3, -v7
	ds_read2st64_b64 v[7:10], v45 offset0:20 offset1:22
	v_mul_f32_e32 v60, v46, v4
	v_mul_f32_e32 v46, v49, v4
	v_fma_f32 v61, v48, v3, -v46
	v_fmac_f32_e32 v60, v47, v3
	s_waitcnt lgkmcnt(0)
	v_mul_f32_e32 v46, v8, v6
	v_fma_f32 v63, v7, v5, -v46
	v_mul_f32_e32 v64, v7, v6
	v_mul_f32_e32 v7, v10, v6
	;; [unrolled: 1-line block ×3, first 2 shown]
	v_fmac_f32_e32 v64, v8, v5
	v_fma_f32 v65, v9, v5, -v7
	v_fmac_f32_e32 v66, v10, v5
	v_lshlrev_b32_e32 v5, 7, v26
	v_add3_u32 v47, 0, v5, v2
	ds_read_b64 v[5:6], v47
	v_mul_f32_e32 v62, v48, v4
	v_mad_i32_i24 v48, v43, s0, v54
	v_lshlrev_b32_e32 v7, 7, v29
	v_add_u32_e32 v8, 0x1400, v45
	v_fmac_f32_e32 v62, v49, v3
	v_add3_u32 v49, 0, v7, v2
	ds_read_b64 v[9:10], v48
	ds_read_b64 v[50:51], v49
	;; [unrolled: 1-line block ×3, first 2 shown]
	ds_read2_b32 v[54:55], v8 offset1:1
	s_waitcnt lgkmcnt(4)
	v_mul_f32_e32 v7, v4, v6
	v_mul_f32_e32 v67, v4, v5
	v_fma_f32 v46, v3, v5, -v7
	v_fmac_f32_e32 v67, v3, v6
	ds_read2st64_b64 v[5:8], v45 offset0:24 offset1:26
	s_waitcnt lgkmcnt(1)
	v_mul_f32_e32 v68, v55, v4
	v_fma_f32 v68, v3, v54, -v68
	v_mul_f32_e32 v54, v4, v54
	v_fmac_f32_e32 v54, v55, v3
	s_waitcnt vmcnt(0) lgkmcnt(0)
	v_mul_f32_e32 v3, v12, v6
	v_mul_f32_e32 v69, v12, v5
	v_fma_f32 v55, v11, v5, -v3
	v_fmac_f32_e32 v69, v11, v6
	ds_read2st64_b64 v[3:6], v45 offset0:28 offset1:30
	v_mul_f32_e32 v70, v8, v12
	v_fma_f32 v70, v7, v11, -v70
	v_mul_f32_e32 v71, v7, v12
	v_fmac_f32_e32 v71, v8, v11
	s_waitcnt lgkmcnt(0)
	v_mul_f32_e32 v7, v4, v12
	v_fma_f32 v72, v3, v11, -v7
	v_mul_f32_e32 v73, v3, v12
	v_mul_f32_e32 v3, v6, v12
	;; [unrolled: 1-line block ×3, first 2 shown]
	v_fmac_f32_e32 v73, v4, v11
	v_fma_f32 v74, v5, v11, -v3
	v_fmac_f32_e32 v75, v6, v11
	v_sub_f32_e32 v11, v52, v13
	v_sub_f32_e32 v12, v53, v56
	;; [unrolled: 1-line block ×4, first 2 shown]
	v_fma_f32 v5, v52, 2.0, -v11
	v_fma_f32 v6, v53, 2.0, -v12
	;; [unrolled: 1-line block ×4, first 2 shown]
	v_lshlrev_b32_e32 v13, 7, v41
	v_sub_f32_e32 v3, v5, v3
	v_sub_f32_e32 v4, v6, v4
	;; [unrolled: 1-line block ×3, first 2 shown]
	v_add_f32_e32 v8, v12, v8
	v_add3_u32 v46, 0, v13, v2
	v_lshlrev_b32_e32 v13, 7, v30
	v_fma_f32 v5, v5, 2.0, -v3
	v_fma_f32 v6, v6, 2.0, -v4
	;; [unrolled: 1-line block ×4, first 2 shown]
	v_add3_u32 v67, 0, v13, v2
	ds_read_b64 v[52:53], v46
	s_waitcnt lgkmcnt(0)
	s_barrier
	ds_write2st64_b64 v67, v[5:6], v[11:12] offset1:2
	ds_write2st64_b64 v67, v[3:4], v[7:8] offset0:4 offset1:6
	v_sub_f32_e32 v11, v9, v57
	v_sub_f32_e32 v12, v10, v58
	;; [unrolled: 1-line block ×4, first 2 shown]
	v_fma_f32 v5, v9, 2.0, -v11
	v_fma_f32 v6, v10, 2.0, -v12
	;; [unrolled: 1-line block ×4, first 2 shown]
	v_sub_f32_e32 v3, v5, v3
	v_sub_f32_e32 v4, v6, v4
	v_sub_f32_e32 v7, v11, v7
	v_add_f32_e32 v8, v12, v8
	v_fma_f32 v5, v5, 2.0, -v3
	v_fma_f32 v6, v6, 2.0, -v4
	;; [unrolled: 1-line block ×4, first 2 shown]
	ds_write2st64_b64 v67, v[5:6], v[9:10] offset0:8 offset1:10
	ds_write2st64_b64 v67, v[3:4], v[7:8] offset0:12 offset1:14
	v_sub_f32_e32 v9, v50, v63
	v_sub_f32_e32 v10, v51, v64
	;; [unrolled: 1-line block ×4, first 2 shown]
	v_fma_f32 v5, v50, 2.0, -v9
	v_fma_f32 v6, v51, 2.0, -v10
	;; [unrolled: 1-line block ×4, first 2 shown]
	v_sub_f32_e32 v3, v5, v3
	v_sub_f32_e32 v4, v6, v4
	;; [unrolled: 1-line block ×3, first 2 shown]
	v_add_f32_e32 v8, v10, v8
	v_lshlrev_b32_e32 v11, 7, v34
	v_fma_f32 v5, v5, 2.0, -v3
	v_fma_f32 v6, v6, 2.0, -v4
	v_fma_f32 v9, v9, 2.0, -v7
	v_fma_f32 v10, v10, 2.0, -v8
	v_add3_u32 v68, 0, v11, v2
	ds_write2st64_b64 v68, v[5:6], v[9:10] offset1:2
	ds_write2st64_b64 v68, v[3:4], v[7:8] offset0:4 offset1:6
	v_sub_f32_e32 v9, v52, v65
	v_sub_f32_e32 v10, v53, v66
	;; [unrolled: 1-line block ×4, first 2 shown]
	v_fma_f32 v5, v52, 2.0, -v9
	v_fma_f32 v6, v53, 2.0, -v10
	v_fma_f32 v3, v61, 2.0, -v8
	v_fma_f32 v4, v62, 2.0, -v7
	v_sub_f32_e32 v3, v5, v3
	v_sub_f32_e32 v4, v6, v4
	;; [unrolled: 1-line block ×3, first 2 shown]
	v_add_f32_e32 v8, v10, v8
	v_fma_f32 v5, v5, 2.0, -v3
	v_fma_f32 v6, v6, 2.0, -v4
	;; [unrolled: 1-line block ×4, first 2 shown]
	v_and_b32_e32 v65, 15, v39
	ds_write2st64_b64 v67, v[5:6], v[9:10] offset0:24 offset1:26
	ds_write2st64_b64 v67, v[3:4], v[7:8] offset0:28 offset1:30
	v_lshlrev_b32_e32 v3, 3, v65
	s_waitcnt lgkmcnt(0)
	s_barrier
	global_load_dword v7, v3, s[16:17] offset:196
	global_load_dwordx2 v[10:11], v3, s[16:17] offset:192
	v_and_b32_e32 v66, 23, v21
	v_lshlrev_b32_e32 v69, 3, v41
	v_lshlrev_b32_e32 v3, 3, v66
	global_load_dword v52, v69, s[16:17] offset:192
	global_load_dword v56, v3, s[16:17] offset:196
	global_load_dwordx2 v[12:13], v3, s[16:17] offset:192
	v_lshlrev_b32_e32 v70, 3, v43
	global_load_dword v57, v70, s[16:17] offset:192
	v_and_b32_e32 v72, 31, v37
	v_lshlrev_b32_e32 v71, 3, v29
	v_lshlrev_b32_e32 v59, 3, v72
	global_load_dword v77, v59, s[16:17] offset:196
	global_load_dword v58, v71, s[16:17] offset:192
	global_load_dwordx2 v[54:55], v59, s[16:17] offset:192
	v_lshlrev_b32_e32 v53, 3, v30
	global_load_dwordx2 v[50:51], v53, s[16:17] offset:192
	ds_read2st64_b64 v[3:6], v45 offset0:26 offset1:28
	v_mul_lo_u32 v30, v1, v30
	s_load_dwordx2 s[0:1], s[4:5], 0x8
	v_mul_lo_u32 v34, v1, v34
	s_waitcnt vmcnt(9) lgkmcnt(0)
	v_mul_f32_e32 v8, v4, v7
	v_mul_f32_e32 v74, v3, v7
	s_waitcnt vmcnt(8)
	v_fma_f32 v73, v3, v10, -v8
	v_fmac_f32_e32 v74, v4, v10
	ds_read2st64_b64 v[7:10], v45 offset0:18 offset1:20
	s_waitcnt vmcnt(6)
	v_mul_f32_e32 v3, v6, v56
	s_waitcnt vmcnt(5)
	v_fma_f32 v75, v5, v12, -v3
	v_mul_f32_e32 v76, v5, v56
	v_fmac_f32_e32 v76, v6, v12
	s_waitcnt lgkmcnt(0)
	v_mul_f32_e32 v3, v11, v8
	s_waitcnt vmcnt(4)
	v_fma_f32 v79, v57, v7, -v3
	ds_read2st64_b64 v[3:6], v45 offset0:22 offset1:24
	v_mul_f32_e32 v78, v11, v7
	v_mul_f32_e32 v7, v13, v10
	;; [unrolled: 1-line block ×3, first 2 shown]
	s_waitcnt vmcnt(2)
	v_fma_f32 v80, v58, v9, -v7
	s_waitcnt vmcnt(1) lgkmcnt(0)
	v_mul_f32_e32 v7, v55, v4
	v_fmac_f32_e32 v78, v57, v8
	v_fmac_f32_e32 v13, v58, v10
	v_fma_f32 v81, v52, v3, -v7
	ds_read2st64_b64 v[7:10], v45 offset1:16
	v_mul_f32_e32 v82, v55, v3
	s_waitcnt vmcnt(0)
	v_mul_f32_e32 v3, v6, v51
	v_fma_f32 v83, v5, v50, -v3
	v_fmac_f32_e32 v82, v52, v4
	s_waitcnt lgkmcnt(0)
	v_mul_f32_e32 v3, v51, v10
	v_fma_f32 v3, v50, v9, -v3
	v_sub_f32_e32 v3, v7, v3
	v_mul_f32_e32 v84, v5, v51
	v_mul_f32_e32 v4, v51, v9
	v_fma_f32 v5, v7, 2.0, -v3
	v_lshlrev_b32_e32 v7, 7, v39
	v_fmac_f32_e32 v84, v6, v50
	v_fmac_f32_e32 v4, v50, v10
	v_add3_u32 v50, 0, v7, v2
	v_lshlrev_b32_e32 v7, 7, v21
	v_sub_f32_e32 v4, v8, v4
	v_add3_u32 v51, 0, v7, v2
	v_lshlrev_b32_e32 v7, 7, v37
	v_fma_f32 v6, v8, 2.0, -v4
	v_add3_u32 v52, 0, v7, v2
	ds_read_b64 v[7:8], v46
	ds_read_b64 v[9:10], v50
	;; [unrolled: 1-line block ×7, first 2 shown]
	ds_read_b64 v[63:64], v45 offset:15360
	s_waitcnt lgkmcnt(0)
	s_barrier
	ds_write2st64_b64 v67, v[5:6], v[3:4] offset1:8
	v_sub_f32_e32 v3, v59, v79
	v_sub_f32_e32 v4, v60, v78
	v_fma_f32 v5, v59, 2.0, -v3
	v_lshlrev_b32_e32 v59, 7, v43
	v_fma_f32 v6, v60, 2.0, -v4
	v_add3_u32 v59, 0, v59, v2
	ds_write2st64_b64 v59, v[5:6], v[3:4] offset1:8
	v_sub_f32_e32 v3, v57, v80
	v_sub_f32_e32 v4, v58, v13
	v_fma_f32 v5, v57, 2.0, -v3
	v_fma_f32 v6, v58, 2.0, -v4
	ds_write2st64_b64 v49, v[5:6], v[3:4] offset1:8
	v_sub_f32_e32 v3, v7, v81
	v_sub_f32_e32 v4, v8, v82
	v_fma_f32 v5, v7, 2.0, -v3
	v_fma_f32 v6, v8, 2.0, -v4
	;; [unrolled: 5-line block ×3, first 2 shown]
	ds_write2st64_b64 v68, v[5:6], v[3:4] offset1:8
	v_sub_f32_e32 v3, v9, v73
	v_sub_f32_e32 v4, v10, v74
	v_lshlrev_b32_e32 v7, 7, v65
	v_fma_f32 v5, v9, 2.0, -v3
	v_fma_f32 v6, v10, 2.0, -v4
	v_add3_u32 v7, 0, v7, v2
	ds_write2st64_b64 v7, v[5:6], v[3:4] offset0:16 offset1:24
	v_sub_f32_e32 v3, v11, v75
	v_sub_f32_e32 v4, v12, v76
	v_lshlrev_b32_e32 v7, 7, v66
	v_fma_f32 v5, v11, 2.0, -v3
	v_fma_f32 v6, v12, 2.0, -v4
	v_add3_u32 v7, 0, v7, v2
	ds_write2st64_b64 v7, v[5:6], v[3:4] offset0:16 offset1:24
	v_mul_f32_e32 v3, v64, v77
	v_mul_f32_e32 v4, v63, v77
	v_fma_f32 v3, v63, v54, -v3
	v_fmac_f32_e32 v4, v64, v54
	v_sub_f32_e32 v3, v55, v3
	v_sub_f32_e32 v4, v56, v4
	v_lshlrev_b32_e32 v7, 7, v72
	v_fma_f32 v5, v55, 2.0, -v3
	v_fma_f32 v6, v56, 2.0, -v4
	v_add3_u32 v2, 0, v7, v2
	ds_write2st64_b64 v2, v[5:6], v[3:4] offset0:16 offset1:24
	s_waitcnt lgkmcnt(0)
	s_barrier
	global_load_dwordx2 v[10:11], v70, s[16:17] offset:448
	global_load_dwordx2 v[12:13], v71, s[16:17] offset:448
	global_load_dwordx2 v[62:63], v69, s[16:17] offset:448
	v_lshlrev_b32_e32 v2, 3, v26
	ds_read2st64_b64 v[54:57], v45 offset0:18 offset1:20
	global_load_dwordx2 v[4:5], v2, s[16:17] offset:448
	v_lshlrev_b32_e32 v58, 3, v39
	v_lshlrev_b32_e32 v59, 3, v21
	;; [unrolled: 1-line block ×3, first 2 shown]
	global_load_dwordx2 v[8:9], v58, s[16:17] offset:448
	global_load_dwordx2 v[6:7], v59, s[16:17] offset:448
	;; [unrolled: 1-line block ×4, first 2 shown]
	ds_read2st64_b64 v[58:61], v45 offset0:22 offset1:24
	v_mul_lo_u32 v66, v1, v43
	v_mul_lo_u32 v67, v1, v44
	;; [unrolled: 1-line block ×4, first 2 shown]
	v_lshlrev_b32_sdwa v70, v106, v66 dst_sel:DWORD dst_unused:UNUSED_PAD src0_sel:DWORD src1_sel:BYTE_1
	v_lshlrev_b32_sdwa v71, v106, v67 dst_sel:DWORD dst_unused:UNUSED_PAD src0_sel:DWORD src1_sel:BYTE_0
	v_lshlrev_b32_sdwa v72, v106, v67 dst_sel:DWORD dst_unused:UNUSED_PAD src0_sel:DWORD src1_sel:BYTE_1
	v_mul_lo_u32 v79, v1, v42
	v_mul_lo_u32 v26, v1, v26
	v_lshlrev_b32_sdwa v76, v106, v73 dst_sel:DWORD dst_unused:UNUSED_PAD src0_sel:DWORD src1_sel:BYTE_1
	v_lshlrev_b32_sdwa v77, v106, v32 dst_sel:DWORD dst_unused:UNUSED_PAD src0_sel:DWORD src1_sel:BYTE_0
	v_lshlrev_b32_sdwa v32, v106, v32 dst_sel:DWORD dst_unused:UNUSED_PAD src0_sel:DWORD src1_sel:BYTE_1
	v_lshlrev_b32_sdwa v82, v106, v78 dst_sel:DWORD dst_unused:UNUSED_PAD src0_sel:DWORD src1_sel:BYTE_1
	v_lshlrev_b32_sdwa v83, v106, v79 dst_sel:DWORD dst_unused:UNUSED_PAD src0_sel:DWORD src1_sel:BYTE_0
	v_lshlrev_b32_sdwa v84, v106, v79 dst_sel:DWORD dst_unused:UNUSED_PAD src0_sel:DWORD src1_sel:BYTE_1
	v_mul_lo_u32 v21, v1, v21
	v_mul_lo_u32 v37, v1, v37
	;; [unrolled: 1-line block ×3, first 2 shown]
	s_waitcnt vmcnt(7) lgkmcnt(1)
	v_mul_f32_e32 v53, v11, v55
	v_mul_f32_e32 v111, v11, v54
	v_fma_f32 v110, v10, v54, -v53
	v_fmac_f32_e32 v111, v10, v55
	s_waitcnt vmcnt(6)
	v_mul_f32_e32 v10, v13, v57
	v_fma_f32 v112, v12, v56, -v10
	s_waitcnt vmcnt(5) lgkmcnt(0)
	v_mul_f32_e32 v10, v63, v59
	v_mul_f32_e32 v115, v63, v58
	;; [unrolled: 1-line block ×3, first 2 shown]
	v_fma_f32 v114, v62, v58, -v10
	v_fmac_f32_e32 v115, v62, v59
	v_lshlrev_b32_sdwa v62, v106, v30 dst_sel:DWORD dst_unused:UNUSED_PAD src0_sel:DWORD src1_sel:BYTE_0
	v_fmac_f32_e32 v113, v12, v57
	ds_read2st64_b64 v[10:13], v45 offset0:26 offset1:28
	v_lshlrev_b32_sdwa v30, v106, v30 dst_sel:DWORD dst_unused:UNUSED_PAD src0_sel:DWORD src1_sel:BYTE_1
	v_lshlrev_b32_sdwa v63, v106, v34 dst_sel:DWORD dst_unused:UNUSED_PAD src0_sel:DWORD src1_sel:BYTE_0
	v_lshlrev_b32_sdwa v34, v106, v34 dst_sel:DWORD dst_unused:UNUSED_PAD src0_sel:DWORD src1_sel:BYTE_1
	global_load_dwordx2 v[43:44], v62, s[0:1]
	global_load_dwordx2 v[53:54], v30, s[0:1] offset:2048
	global_load_dwordx2 v[55:56], v63, s[0:1]
	global_load_dwordx2 v[57:58], v34, s[0:1] offset:2048
	v_lshlrev_b32_sdwa v34, v106, v66 dst_sel:DWORD dst_unused:UNUSED_PAD src0_sel:DWORD src1_sel:BYTE_0
	global_load_dwordx2 v[29:30], v34, s[0:1]
	global_load_dwordx2 v[62:63], v70, s[0:1] offset:2048
	global_load_dwordx2 v[66:67], v71, s[0:1]
	global_load_dwordx2 v[68:69], v72, s[0:1] offset:2048
	v_lshlrev_b32_sdwa v34, v106, v73 dst_sel:DWORD dst_unused:UNUSED_PAD src0_sel:DWORD src1_sel:BYTE_0
	;; [unrolled: 5-line block ×4, first 2 shown]
	v_lshlrev_b32_sdwa v26, v106, v26 dst_sel:DWORD dst_unused:UNUSED_PAD src0_sel:DWORD src1_sel:BYTE_1
	global_load_dwordx2 v[39:40], v34, s[0:1]
	global_load_dwordx2 v[82:83], v26, s[0:1] offset:2048
	global_load_dwordx2 v[84:85], v88, s[0:1]
	global_load_dwordx2 v[86:87], v89, s[0:1] offset:2048
	v_lshlrev_b32_sdwa v26, v106, v90 dst_sel:DWORD dst_unused:UNUSED_PAD src0_sel:DWORD src1_sel:BYTE_0
	v_lshlrev_b32_sdwa v34, v106, v90 dst_sel:DWORD dst_unused:UNUSED_PAD src0_sel:DWORD src1_sel:BYTE_1
	global_load_dwordx2 v[88:89], v26, s[0:1]
	global_load_dwordx2 v[90:91], v34, s[0:1] offset:2048
	global_load_dwordx2 v[92:93], v96, s[0:1]
	global_load_dwordx2 v[94:95], v97, s[0:1] offset:2048
	v_lshlrev_b32_sdwa v26, v106, v21 dst_sel:DWORD dst_unused:UNUSED_PAD src0_sel:DWORD src1_sel:BYTE_0
	v_lshlrev_b32_sdwa v21, v106, v21 dst_sel:DWORD dst_unused:UNUSED_PAD src0_sel:DWORD src1_sel:BYTE_1
	v_lshlrev_b32_sdwa v34, v106, v28 dst_sel:DWORD dst_unused:UNUSED_PAD src0_sel:DWORD src1_sel:BYTE_0
	global_load_dwordx2 v[96:97], v26, s[0:1]
	global_load_dwordx2 v[98:99], v21, s[0:1] offset:2048
	v_lshlrev_b32_sdwa v21, v106, v28 dst_sel:DWORD dst_unused:UNUSED_PAD src0_sel:DWORD src1_sel:BYTE_1
	global_load_dwordx2 v[100:101], v34, s[0:1]
	global_load_dwordx2 v[102:103], v21, s[0:1] offset:2048
	v_lshlrev_b32_sdwa v21, v106, v37 dst_sel:DWORD dst_unused:UNUSED_PAD src0_sel:DWORD src1_sel:BYTE_0
	v_lshlrev_b32_sdwa v26, v106, v37 dst_sel:DWORD dst_unused:UNUSED_PAD src0_sel:DWORD src1_sel:BYTE_1
	global_load_dwordx2 v[37:38], v21, s[0:1]
	global_load_dwordx2 v[104:105], v26, s[0:1] offset:2048
	v_lshlrev_b32_sdwa v26, v106, v1 dst_sel:DWORD dst_unused:UNUSED_PAD src0_sel:DWORD src1_sel:BYTE_0
	v_lshlrev_b32_sdwa v1, v106, v1 dst_sel:DWORD dst_unused:UNUSED_PAD src0_sel:DWORD src1_sel:BYTE_1
	global_load_dwordx2 v[106:107], v26, s[0:1]
	global_load_dwordx2 v[108:109], v1, s[0:1] offset:2048
	s_waitcnt vmcnt(36)
	v_mul_f32_e32 v59, v61, v5
	v_mul_f32_e32 v26, v60, v5
	v_fma_f32 v21, v60, v4, -v59
	v_fmac_f32_e32 v26, v61, v4
	ds_read_b64 v[4:5], v45 offset:15360
	s_waitcnt vmcnt(35) lgkmcnt(1)
	v_mul_f32_e32 v1, v11, v9
	v_fma_f32 v28, v10, v8, -v1
	s_waitcnt vmcnt(34)
	v_mul_f32_e32 v1, v13, v7
	v_mul_f32_e32 v34, v10, v9
	v_fma_f32 v59, v12, v6, -v1
	v_mul_f32_e32 v60, v12, v7
	s_waitcnt vmcnt(33) lgkmcnt(0)
	v_mul_f32_e32 v1, v5, v3
	v_fmac_f32_e32 v34, v11, v8
	v_fmac_f32_e32 v60, v13, v6
	ds_read_b64 v[6:7], v49
	ds_read_b64 v[8:9], v48
	;; [unrolled: 1-line block ×3, first 2 shown]
	v_fma_f32 v13, v4, v2, -v1
	v_mul_f32_e32 v47, v4, v3
	v_fmac_f32_e32 v47, v5, v2
	s_waitcnt vmcnt(30)
	v_mul_f32_e32 v1, v44, v54
	v_fma_f32 v5, v43, v53, -v1
	s_waitcnt vmcnt(28)
	v_mul_f32_e32 v1, v56, v58
	v_mul_f32_e32 v12, v43, v54
	v_fma_f32 v43, v55, v57, -v1
	s_waitcnt vmcnt(26)
	v_mul_f32_e32 v1, v30, v63
	v_fma_f32 v48, v29, v62, -v1
	v_mul_f32_e32 v29, v29, v63
	s_waitcnt vmcnt(24)
	v_mul_f32_e32 v1, v67, v69
	v_fmac_f32_e32 v29, v30, v62
	v_fma_f32 v30, v66, v68, -v1
	s_waitcnt vmcnt(22)
	v_mul_f32_e32 v1, v42, v71
	v_fmac_f32_e32 v12, v44, v53
	v_fma_f32 v53, v41, v70, -v1
	v_mul_f32_e32 v41, v41, v71
	s_waitcnt vmcnt(20)
	v_mul_f32_e32 v1, v73, v75
	v_fmac_f32_e32 v41, v42, v70
	v_fma_f32 v42, v72, v74, -v1
	s_waitcnt vmcnt(18)
	v_mul_f32_e32 v1, v32, v77
	v_mul_f32_e32 v44, v55, v58
	v_fma_f32 v55, v31, v76, -v1
	v_mul_f32_e32 v31, v31, v77
	s_waitcnt vmcnt(16)
	v_mul_f32_e32 v1, v79, v81
	v_fmac_f32_e32 v31, v32, v76
	v_fma_f32 v32, v78, v80, -v1
	s_waitcnt vmcnt(14)
	v_mul_f32_e32 v1, v40, v83
	v_fmac_f32_e32 v44, v56, v57
	v_fma_f32 v57, v39, v82, -v1
	v_mul_f32_e32 v39, v39, v83
	s_waitcnt vmcnt(12)
	v_mul_f32_e32 v1, v85, v87
	v_fmac_f32_e32 v39, v40, v82
	v_fma_f32 v40, v84, v86, -v1
	s_waitcnt vmcnt(10)
	v_mul_f32_e32 v1, v89, v91
	v_fma_f32 v61, v88, v90, -v1
	s_waitcnt vmcnt(8)
	v_mul_f32_e32 v1, v93, v95
	v_mul_f32_e32 v49, v66, v69
	v_fma_f32 v63, v92, v94, -v1
	s_waitcnt vmcnt(6)
	v_mul_f32_e32 v1, v97, v99
	v_fmac_f32_e32 v49, v67, v68
	v_fma_f32 v67, v96, v98, -v1
	s_waitcnt vmcnt(4)
	v_mul_f32_e32 v1, v101, v103
	v_fma_f32 v69, v100, v102, -v1
	s_waitcnt vmcnt(2)
	v_mul_f32_e32 v1, v38, v105
	v_fma_f32 v71, v37, v104, -v1
	ds_read2st64_b64 v[1:4], v45 offset1:16
	v_mul_f32_e32 v54, v72, v75
	v_fmac_f32_e32 v54, v73, v74
	v_mul_f32_e32 v56, v78, v81
	v_fmac_f32_e32 v56, v79, v80
	s_waitcnt lgkmcnt(0)
	v_mul_f32_e32 v72, v65, v4
	v_fma_f32 v72, v64, v3, -v72
	v_mul_f32_e32 v3, v65, v3
	v_fmac_f32_e32 v3, v64, v4
	v_sub_f32_e32 v4, v1, v72
	v_sub_f32_e32 v3, v2, v3
	v_fma_f32 v64, v1, 2.0, -v4
	v_fma_f32 v65, v2, 2.0, -v3
	v_mul_f32_e32 v1, v65, v12
	v_mul_f32_e32 v2, v64, v12
	v_fma_f32 v1, v64, v5, -v1
	v_fmac_f32_e32 v2, v65, v5
	buffer_store_dwordx2 v[1:2], v18, s[8:11], s2 offen
	v_mul_f32_e32 v1, v3, v44
	v_fma_f32 v1, v4, v43, -v1
	v_mul_f32_e32 v2, v4, v44
	v_sub_f32_e32 v4, v9, v111
	v_fmac_f32_e32 v2, v3, v43
	v_sub_f32_e32 v3, v8, v110
	v_fma_f32 v5, v9, 2.0, -v4
	buffer_store_dwordx2 v[1:2], v20, s[8:11], s2 offen
	v_fma_f32 v2, v8, 2.0, -v3
	v_mul_f32_e32 v1, v5, v29
	v_fma_f32 v1, v2, v48, -v1
	v_mul_f32_e32 v2, v2, v29
	v_fmac_f32_e32 v2, v5, v48
	buffer_store_dwordx2 v[1:2], v36, s[8:11], s2 offen
	v_mul_f32_e32 v2, v3, v49
	v_mul_f32_e32 v1, v4, v49
	v_fmac_f32_e32 v2, v4, v30
	v_sub_f32_e32 v4, v7, v113
	v_fma_f32 v1, v3, v30, -v1
	v_sub_f32_e32 v3, v6, v112
	v_fma_f32 v5, v7, 2.0, -v4
	buffer_store_dwordx2 v[1:2], v35, s[8:11], s2 offen
	v_fma_f32 v2, v6, 2.0, -v3
	v_mul_f32_e32 v1, v5, v41
	v_fma_f32 v1, v2, v53, -v1
	v_mul_f32_e32 v2, v2, v41
	v_fmac_f32_e32 v2, v5, v53
	buffer_store_dwordx2 v[1:2], v17, s[8:11], s2 offen
	v_mul_f32_e32 v1, v4, v54
	v_mul_f32_e32 v2, v3, v54
	v_fma_f32 v1, v3, v42, -v1
	v_fmac_f32_e32 v2, v4, v42
	ds_read_b64 v[3:4], v46
	buffer_store_dwordx2 v[1:2], v19, s[8:11], s2 offen
	ds_read_b64 v[1:2], v50
	ds_read_b64 v[5:6], v51
	;; [unrolled: 1-line block ×3, first 2 shown]
	v_mul_f32_e32 v58, v84, v87
	v_fmac_f32_e32 v58, v85, v86
	s_waitcnt lgkmcnt(3)
	v_sub_f32_e32 v9, v3, v114
	v_sub_f32_e32 v12, v4, v115
	v_fma_f32 v17, v3, 2.0, -v9
	v_fma_f32 v18, v4, 2.0, -v12
	v_mul_f32_e32 v3, v18, v31
	v_mul_f32_e32 v4, v17, v31
	v_fma_f32 v3, v17, v55, -v3
	v_fmac_f32_e32 v4, v18, v55
	buffer_store_dwordx2 v[3:4], v33, s[8:11], s2 offen
	v_mul_f32_e32 v4, v9, v56
	v_sub_f32_e32 v17, v11, v26
	v_mul_f32_e32 v3, v12, v56
	v_fmac_f32_e32 v4, v12, v32
	v_sub_f32_e32 v12, v10, v21
	v_fma_f32 v11, v11, 2.0, -v17
	v_fma_f32 v3, v9, v32, -v3
	v_fma_f32 v10, v10, 2.0, -v12
	v_mul_f32_e32 v9, v11, v39
	v_fma_f32 v9, v10, v57, -v9
	v_mul_f32_e32 v10, v10, v39
	v_mul_f32_e32 v62, v88, v91
	v_fmac_f32_e32 v10, v11, v57
	v_mul_f32_e32 v11, v17, v58
	s_waitcnt lgkmcnt(2)
	v_sub_f32_e32 v19, v2, v34
	v_fmac_f32_e32 v62, v89, v90
	v_mul_f32_e32 v66, v92, v95
	v_fma_f32 v11, v12, v40, -v11
	v_mul_f32_e32 v12, v12, v58
	v_sub_f32_e32 v18, v1, v28
	v_fma_f32 v20, v2, 2.0, -v19
	v_fmac_f32_e32 v66, v93, v94
	v_fmac_f32_e32 v12, v17, v40
	v_fma_f32 v17, v1, 2.0, -v18
	v_mul_f32_e32 v1, v20, v62
	v_mul_f32_e32 v68, v96, v99
	v_fma_f32 v1, v17, v61, -v1
	v_mul_f32_e32 v2, v17, v62
	v_mul_f32_e32 v17, v19, v66
	s_waitcnt lgkmcnt(1)
	v_sub_f32_e32 v21, v6, v60
	v_fmac_f32_e32 v68, v97, v98
	v_mul_f32_e32 v70, v100, v103
	v_fmac_f32_e32 v2, v20, v61
	v_fma_f32 v17, v18, v63, -v17
	v_mul_f32_e32 v18, v18, v66
	v_sub_f32_e32 v20, v5, v59
	v_fma_f32 v26, v6, 2.0, -v21
	v_fmac_f32_e32 v70, v101, v102
	v_fmac_f32_e32 v18, v19, v63
	v_fma_f32 v19, v5, 2.0, -v20
	v_mul_f32_e32 v5, v26, v68
	v_fma_f32 v5, v19, v67, -v5
	v_mul_f32_e32 v6, v19, v68
	v_mul_f32_e32 v19, v21, v70
	v_fma_f32 v19, v20, v69, -v19
	v_mul_f32_e32 v20, v20, v70
	v_mul_f32_e32 v37, v37, v105
	v_fmac_f32_e32 v20, v21, v69
	s_waitcnt lgkmcnt(0)
	v_sub_f32_e32 v21, v8, v47
	v_fmac_f32_e32 v37, v38, v104
	s_waitcnt vmcnt(7)
	v_mul_f32_e32 v45, v106, v109
	v_sub_f32_e32 v13, v7, v13
	v_fma_f32 v28, v8, 2.0, -v21
	v_mul_f32_e32 v38, v107, v109
	v_fmac_f32_e32 v45, v107, v108
	v_fmac_f32_e32 v6, v26, v67
	v_fma_f32 v26, v7, 2.0, -v13
	v_mul_f32_e32 v7, v28, v37
	v_fma_f32 v38, v106, v108, -v38
	v_fma_f32 v7, v26, v71, -v7
	v_mul_f32_e32 v8, v26, v37
	v_mul_f32_e32 v26, v21, v45
	;; [unrolled: 1-line block ×3, first 2 shown]
	v_fmac_f32_e32 v8, v28, v71
	v_fma_f32 v28, v13, v38, -v26
	v_fmac_f32_e32 v29, v21, v38
	buffer_store_dwordx2 v[3:4], v27, s[8:11], s2 offen
	buffer_store_dwordx2 v[9:10], v14, s[8:11], s2 offen
	;; [unrolled: 1-line block ×9, first 2 shown]
	s_endpgm
	.section	.rodata,"a",@progbits
	.p2align	6, 0x0
	.amdhsa_kernel fft_rtc_fwd_len128_factors_8_4_2_2_wgs_128_tpt_8_dim3_sp_ip_CI_sbcc_twdbase8_2step_dirReg_intrinsicReadWrite
		.amdhsa_group_segment_fixed_size 0
		.amdhsa_private_segment_fixed_size 0
		.amdhsa_kernarg_size 88
		.amdhsa_user_sgpr_count 6
		.amdhsa_user_sgpr_private_segment_buffer 1
		.amdhsa_user_sgpr_dispatch_ptr 0
		.amdhsa_user_sgpr_queue_ptr 0
		.amdhsa_user_sgpr_kernarg_segment_ptr 1
		.amdhsa_user_sgpr_dispatch_id 0
		.amdhsa_user_sgpr_flat_scratch_init 0
		.amdhsa_user_sgpr_private_segment_size 0
		.amdhsa_uses_dynamic_stack 0
		.amdhsa_system_sgpr_private_segment_wavefront_offset 0
		.amdhsa_system_sgpr_workgroup_id_x 1
		.amdhsa_system_sgpr_workgroup_id_y 0
		.amdhsa_system_sgpr_workgroup_id_z 0
		.amdhsa_system_sgpr_workgroup_info 0
		.amdhsa_system_vgpr_workitem_id 0
		.amdhsa_next_free_vgpr 116
		.amdhsa_next_free_sgpr 28
		.amdhsa_reserve_vcc 1
		.amdhsa_reserve_flat_scratch 0
		.amdhsa_float_round_mode_32 0
		.amdhsa_float_round_mode_16_64 0
		.amdhsa_float_denorm_mode_32 3
		.amdhsa_float_denorm_mode_16_64 3
		.amdhsa_dx10_clamp 1
		.amdhsa_ieee_mode 1
		.amdhsa_fp16_overflow 0
		.amdhsa_exception_fp_ieee_invalid_op 0
		.amdhsa_exception_fp_denorm_src 0
		.amdhsa_exception_fp_ieee_div_zero 0
		.amdhsa_exception_fp_ieee_overflow 0
		.amdhsa_exception_fp_ieee_underflow 0
		.amdhsa_exception_fp_ieee_inexact 0
		.amdhsa_exception_int_div_zero 0
	.end_amdhsa_kernel
	.text
.Lfunc_end0:
	.size	fft_rtc_fwd_len128_factors_8_4_2_2_wgs_128_tpt_8_dim3_sp_ip_CI_sbcc_twdbase8_2step_dirReg_intrinsicReadWrite, .Lfunc_end0-fft_rtc_fwd_len128_factors_8_4_2_2_wgs_128_tpt_8_dim3_sp_ip_CI_sbcc_twdbase8_2step_dirReg_intrinsicReadWrite
                                        ; -- End function
	.section	.AMDGPU.csdata,"",@progbits
; Kernel info:
; codeLenInByte = 5688
; NumSgprs: 32
; NumVgprs: 116
; ScratchSize: 0
; MemoryBound: 0
; FloatMode: 240
; IeeeMode: 1
; LDSByteSize: 0 bytes/workgroup (compile time only)
; SGPRBlocks: 3
; VGPRBlocks: 28
; NumSGPRsForWavesPerEU: 32
; NumVGPRsForWavesPerEU: 116
; Occupancy: 2
; WaveLimiterHint : 0
; COMPUTE_PGM_RSRC2:SCRATCH_EN: 0
; COMPUTE_PGM_RSRC2:USER_SGPR: 6
; COMPUTE_PGM_RSRC2:TRAP_HANDLER: 0
; COMPUTE_PGM_RSRC2:TGID_X_EN: 1
; COMPUTE_PGM_RSRC2:TGID_Y_EN: 0
; COMPUTE_PGM_RSRC2:TGID_Z_EN: 0
; COMPUTE_PGM_RSRC2:TIDIG_COMP_CNT: 0
	.type	__hip_cuid_144d7ee738c340a8,@object ; @__hip_cuid_144d7ee738c340a8
	.section	.bss,"aw",@nobits
	.globl	__hip_cuid_144d7ee738c340a8
__hip_cuid_144d7ee738c340a8:
	.byte	0                               ; 0x0
	.size	__hip_cuid_144d7ee738c340a8, 1

	.ident	"AMD clang version 19.0.0git (https://github.com/RadeonOpenCompute/llvm-project roc-6.4.0 25133 c7fe45cf4b819c5991fe208aaa96edf142730f1d)"
	.section	".note.GNU-stack","",@progbits
	.addrsig
	.addrsig_sym __hip_cuid_144d7ee738c340a8
	.amdgpu_metadata
---
amdhsa.kernels:
  - .args:
      - .actual_access:  read_only
        .address_space:  global
        .offset:         0
        .size:           8
        .value_kind:     global_buffer
      - .address_space:  global
        .offset:         8
        .size:           8
        .value_kind:     global_buffer
      - .actual_access:  read_only
        .address_space:  global
        .offset:         16
        .size:           8
        .value_kind:     global_buffer
      - .actual_access:  read_only
        .address_space:  global
        .offset:         24
        .size:           8
        .value_kind:     global_buffer
      - .offset:         32
        .size:           8
        .value_kind:     by_value
      - .actual_access:  read_only
        .address_space:  global
        .offset:         40
        .size:           8
        .value_kind:     global_buffer
      - .actual_access:  read_only
        .address_space:  global
        .offset:         48
        .size:           8
        .value_kind:     global_buffer
      - .offset:         56
        .size:           4
        .value_kind:     by_value
      - .actual_access:  read_only
        .address_space:  global
        .offset:         64
        .size:           8
        .value_kind:     global_buffer
      - .actual_access:  read_only
        .address_space:  global
        .offset:         72
        .size:           8
        .value_kind:     global_buffer
      - .address_space:  global
        .offset:         80
        .size:           8
        .value_kind:     global_buffer
    .group_segment_fixed_size: 0
    .kernarg_segment_align: 8
    .kernarg_segment_size: 88
    .language:       OpenCL C
    .language_version:
      - 2
      - 0
    .max_flat_workgroup_size: 128
    .name:           fft_rtc_fwd_len128_factors_8_4_2_2_wgs_128_tpt_8_dim3_sp_ip_CI_sbcc_twdbase8_2step_dirReg_intrinsicReadWrite
    .private_segment_fixed_size: 0
    .sgpr_count:     32
    .sgpr_spill_count: 0
    .symbol:         fft_rtc_fwd_len128_factors_8_4_2_2_wgs_128_tpt_8_dim3_sp_ip_CI_sbcc_twdbase8_2step_dirReg_intrinsicReadWrite.kd
    .uniform_work_group_size: 1
    .uses_dynamic_stack: false
    .vgpr_count:     116
    .vgpr_spill_count: 0
    .wavefront_size: 64
amdhsa.target:   amdgcn-amd-amdhsa--gfx906
amdhsa.version:
  - 1
  - 2
...

	.end_amdgpu_metadata
